;; amdgpu-corpus repo=zjin-lcf/HeCBench kind=compiled arch=gfx1250 opt=O3
	.amdgcn_target "amdgcn-amd-amdhsa--gfx1250"
	.amdhsa_code_object_version 6
	.text
	.protected	_Z3carPKfS0_S0_S0_Pf6paramsiim ; -- Begin function _Z3carPKfS0_S0_S0_Pf6paramsiim
	.globl	_Z3carPKfS0_S0_S0_Pf6paramsiim
	.p2align	8
	.type	_Z3carPKfS0_S0_S0_Pf6paramsiim,@function
_Z3carPKfS0_S0_S0_Pf6paramsiim:         ; @_Z3carPKfS0_S0_S0_Pf6paramsiim
; %bb.0:
	s_clause 0x1
	s_load_b32 s4, s[0:1], 0x64
	s_load_b64 s[2:3], s[0:1], 0x50
	s_bfe_u32 s5, ttmp6, 0x4000c
	s_and_b32 s6, ttmp6, 15
	s_add_co_i32 s5, s5, 1
	s_getreg_b32 s7, hwreg(HW_REG_IB_STS2, 6, 4)
	s_mul_i32 s5, ttmp9, s5
	v_mov_b32_e32 v1, 0
	s_add_co_i32 s6, s6, s5
	s_wait_kmcnt 0x0
	s_and_b32 s4, s4, 0xffff
	s_cmp_eq_u32 s7, 0
	s_cselect_b32 s5, ttmp9, s6
	s_delay_alu instid0(SALU_CYCLE_1) | instskip(NEXT) | instid1(VALU_DEP_1)
	v_mad_u32 v0, s5, s4, v0
	v_cmp_gt_u64_e32 vcc_lo, s[2:3], v[0:1]
	s_and_saveexec_b32 s2, vcc_lo
	s_cbranch_execz .LBB0_22
; %bb.1:
	s_clause 0x1
	s_load_b96 s[16:18], s[0:1], 0x2c
	s_load_b32 s10, s[0:1], 0x28
	v_mov_b64_e32 v[2:3], 0
	s_mov_b32 s11, exec_lo
	s_wait_kmcnt 0x0
	s_ashr_i32 s5, s17, 31
	s_mov_b32 s4, s17
	s_ashr_i32 s3, s18, 31
	s_mov_b32 s2, s18
	;; [unrolled: 2-line block ×3, first 2 shown]
	s_mul_u64 s[8:9], s[2:3], s[4:5]
	s_delay_alu instid0(SALU_CYCLE_1) | instskip(NEXT) | instid1(SALU_CYCLE_1)
	s_mul_u64 s[12:13], s[8:9], s[6:7]
	v_cmpx_le_u64_e64 s[12:13], v[0:1]
	s_cbranch_execz .LBB0_3
; %bb.2:
	v_cvt_f32_u32_e32 v2, s12
	s_sub_co_i32 s13, 0, s12
	s_delay_alu instid0(VALU_DEP_1) | instskip(SKIP_1) | instid1(TRANS32_DEP_1)
	v_rcp_iflag_f32_e32 v2, v2
	v_nop
	v_mul_f32_e32 v2, 0x4f7ffffe, v2
	s_delay_alu instid0(VALU_DEP_1) | instskip(NEXT) | instid1(VALU_DEP_1)
	v_cvt_u32_f32_e32 v2, v2
	v_mul_lo_u32 v3, s13, v2
	s_delay_alu instid0(VALU_DEP_1) | instskip(NEXT) | instid1(VALU_DEP_1)
	v_mul_hi_u32 v3, v2, v3
	v_add_nc_u32_e32 v2, v2, v3
	s_delay_alu instid0(VALU_DEP_1) | instskip(NEXT) | instid1(VALU_DEP_1)
	v_mul_hi_u32 v2, v0, v2
	v_mul_lo_u32 v3, v2, s12
	s_delay_alu instid0(VALU_DEP_1) | instskip(NEXT) | instid1(VALU_DEP_1)
	v_dual_add_nc_u32 v4, 1, v2 :: v_dual_sub_nc_u32 v3, v0, v3
	v_subrev_nc_u32_e32 v5, s12, v3
	v_cmp_le_u32_e32 vcc_lo, s12, v3
	s_delay_alu instid0(VALU_DEP_2) | instskip(NEXT) | instid1(VALU_DEP_1)
	v_dual_cndmask_b32 v3, v3, v5 :: v_dual_cndmask_b32 v2, v2, v4
	v_cmp_le_u32_e32 vcc_lo, s12, v3
	s_delay_alu instid0(VALU_DEP_2) | instskip(NEXT) | instid1(VALU_DEP_1)
	v_dual_mov_b32 v3, 0 :: v_dual_add_nc_u32 v4, 1, v2
	v_cndmask_b32_e32 v2, v2, v4, vcc_lo
.LBB0_3:
	s_or_b32 exec_lo, exec_lo, s11
	s_ashr_i32 s11, s10, 31
	s_delay_alu instid0(VALU_DEP_1) | instid1(SALU_CYCLE_1)
	v_cmp_le_u64_e32 vcc_lo, s[10:11], v[2:3]
	s_and_saveexec_b32 s11, vcc_lo
	s_cbranch_execz .LBB0_5
; %bb.4:
	v_cvt_f32_u32_e32 v3, s10
	s_sub_co_i32 s12, 0, s10
	s_delay_alu instid0(VALU_DEP_1) | instskip(SKIP_1) | instid1(TRANS32_DEP_1)
	v_rcp_iflag_f32_e32 v3, v3
	v_nop
	v_mul_f32_e32 v3, 0x4f7ffffe, v3
	s_delay_alu instid0(VALU_DEP_1) | instskip(NEXT) | instid1(VALU_DEP_1)
	v_cvt_u32_f32_e32 v3, v3
	v_mul_lo_u32 v4, s12, v3
	s_delay_alu instid0(VALU_DEP_1) | instskip(NEXT) | instid1(VALU_DEP_1)
	v_mul_hi_u32 v4, v3, v4
	v_add_nc_u32_e32 v3, v3, v4
	s_delay_alu instid0(VALU_DEP_1) | instskip(NEXT) | instid1(VALU_DEP_1)
	v_mul_hi_u32 v3, v2, v3
	v_mul_lo_u32 v3, v3, s10
	s_delay_alu instid0(VALU_DEP_1) | instskip(NEXT) | instid1(VALU_DEP_1)
	v_sub_nc_u32_e32 v2, v2, v3
	v_subrev_nc_u32_e32 v3, s10, v2
	v_cmp_le_u32_e32 vcc_lo, s10, v2
	s_delay_alu instid0(VALU_DEP_2) | instskip(NEXT) | instid1(VALU_DEP_1)
	v_cndmask_b32_e32 v2, v2, v3, vcc_lo
	v_subrev_nc_u32_e32 v3, s10, v2
	v_cmp_le_u32_e32 vcc_lo, s10, v2
	s_delay_alu instid0(VALU_DEP_2)
	v_cndmask_b32_e32 v2, v2, v3, vcc_lo
.LBB0_5:
	s_or_b32 exec_lo, exec_lo, s11
	v_cmp_le_u64_e32 vcc_lo, s[8:9], v[0:1]
	v_mov_b64_e32 v[6:7], 0
	s_and_saveexec_b32 s9, vcc_lo
	s_cbranch_execz .LBB0_7
; %bb.6:
	v_cvt_f32_u32_e32 v3, s8
	s_sub_co_i32 s10, 0, s8
	v_mov_b32_e32 v7, 0
	s_delay_alu instid0(VALU_DEP_2) | instskip(SKIP_1) | instid1(TRANS32_DEP_1)
	v_rcp_iflag_f32_e32 v3, v3
	v_nop
	v_mul_f32_e32 v3, 0x4f7ffffe, v3
	s_delay_alu instid0(VALU_DEP_1) | instskip(NEXT) | instid1(VALU_DEP_1)
	v_cvt_u32_f32_e32 v3, v3
	v_mul_lo_u32 v4, s10, v3
	s_delay_alu instid0(VALU_DEP_1) | instskip(NEXT) | instid1(VALU_DEP_1)
	v_mul_hi_u32 v4, v3, v4
	v_add_nc_u32_e32 v3, v3, v4
	s_delay_alu instid0(VALU_DEP_1) | instskip(NEXT) | instid1(VALU_DEP_1)
	v_mul_hi_u32 v3, v0, v3
	v_mul_lo_u32 v4, v3, s8
	s_delay_alu instid0(VALU_DEP_1) | instskip(NEXT) | instid1(VALU_DEP_1)
	v_dual_add_nc_u32 v5, 1, v3 :: v_dual_sub_nc_u32 v4, v0, v4
	v_subrev_nc_u32_e32 v6, s8, v4
	v_cmp_le_u32_e32 vcc_lo, s8, v4
	s_delay_alu instid0(VALU_DEP_2) | instskip(NEXT) | instid1(VALU_DEP_1)
	v_dual_cndmask_b32 v4, v4, v6 :: v_dual_cndmask_b32 v3, v3, v5
	v_cmp_le_u32_e32 vcc_lo, s8, v4
	s_delay_alu instid0(VALU_DEP_2) | instskip(NEXT) | instid1(VALU_DEP_1)
	v_add_nc_u32_e32 v5, 1, v3
	v_cndmask_b32_e32 v6, v3, v5, vcc_lo
.LBB0_7:
	s_or_b32 exec_lo, exec_lo, s9
	s_delay_alu instid0(VALU_DEP_1)
	v_cmp_le_u64_e32 vcc_lo, s[6:7], v[6:7]
	s_and_saveexec_b32 s7, vcc_lo
	s_cbranch_execz .LBB0_9
; %bb.8:
	v_cvt_f32_u32_e32 v3, s6
	s_sub_co_i32 s8, 0, s6
	s_delay_alu instid0(VALU_DEP_1) | instskip(SKIP_1) | instid1(TRANS32_DEP_1)
	v_rcp_iflag_f32_e32 v3, v3
	v_nop
	v_mul_f32_e32 v3, 0x4f7ffffe, v3
	s_delay_alu instid0(VALU_DEP_1) | instskip(NEXT) | instid1(VALU_DEP_1)
	v_cvt_u32_f32_e32 v3, v3
	v_mul_lo_u32 v4, s8, v3
	s_delay_alu instid0(VALU_DEP_1) | instskip(NEXT) | instid1(VALU_DEP_1)
	v_mul_hi_u32 v4, v3, v4
	v_add_nc_u32_e32 v3, v3, v4
	s_delay_alu instid0(VALU_DEP_1) | instskip(NEXT) | instid1(VALU_DEP_1)
	v_mul_hi_u32 v3, v6, v3
	v_mul_lo_u32 v3, v3, s6
	s_delay_alu instid0(VALU_DEP_1) | instskip(NEXT) | instid1(VALU_DEP_1)
	v_sub_nc_u32_e32 v3, v6, v3
	v_subrev_nc_u32_e32 v4, s6, v3
	v_cmp_le_u32_e32 vcc_lo, s6, v3
	s_delay_alu instid0(VALU_DEP_2) | instskip(NEXT) | instid1(VALU_DEP_1)
	v_cndmask_b32_e32 v3, v3, v4, vcc_lo
	v_subrev_nc_u32_e32 v4, s6, v3
	v_cmp_le_u32_e32 vcc_lo, s6, v3
	s_delay_alu instid0(VALU_DEP_2)
	v_cndmask_b32_e32 v6, v3, v4, vcc_lo
.LBB0_9:
	s_or_b32 exec_lo, exec_lo, s7
	v_cmp_le_u64_e32 vcc_lo, s[2:3], v[0:1]
	v_mov_b64_e32 v[8:9], 0
	s_and_saveexec_b32 s3, vcc_lo
	s_cbranch_execz .LBB0_11
; %bb.10:
	v_cvt_f32_u32_e32 v1, s2
	s_sub_co_i32 s6, 0, s2
	v_mov_b32_e32 v9, 0
	s_delay_alu instid0(VALU_DEP_2) | instskip(SKIP_1) | instid1(TRANS32_DEP_1)
	v_rcp_iflag_f32_e32 v1, v1
	v_nop
	v_mul_f32_e32 v1, 0x4f7ffffe, v1
	s_delay_alu instid0(VALU_DEP_1) | instskip(NEXT) | instid1(VALU_DEP_1)
	v_cvt_u32_f32_e32 v1, v1
	v_mul_lo_u32 v3, s6, v1
	s_delay_alu instid0(VALU_DEP_1) | instskip(NEXT) | instid1(VALU_DEP_1)
	v_mul_hi_u32 v3, v1, v3
	v_add_nc_u32_e32 v1, v1, v3
	s_delay_alu instid0(VALU_DEP_1) | instskip(NEXT) | instid1(VALU_DEP_1)
	v_mul_hi_u32 v1, v0, v1
	v_mul_lo_u32 v3, v1, s2
	s_delay_alu instid0(VALU_DEP_1) | instskip(NEXT) | instid1(VALU_DEP_1)
	v_dual_add_nc_u32 v4, 1, v1 :: v_dual_sub_nc_u32 v3, v0, v3
	v_subrev_nc_u32_e32 v5, s2, v3
	v_cmp_le_u32_e32 vcc_lo, s2, v3
	s_delay_alu instid0(VALU_DEP_2) | instskip(NEXT) | instid1(VALU_DEP_1)
	v_dual_cndmask_b32 v3, v3, v5, vcc_lo :: v_dual_cndmask_b32 v1, v1, v4, vcc_lo
	v_cmp_le_u32_e32 vcc_lo, s2, v3
	s_delay_alu instid0(VALU_DEP_2) | instskip(NEXT) | instid1(VALU_DEP_1)
	v_add_nc_u32_e32 v4, 1, v1
	v_cndmask_b32_e32 v8, v1, v4, vcc_lo
.LBB0_11:
	s_or_b32 exec_lo, exec_lo, s3
	s_load_b32 s3, s[0:1], 0x38
	s_delay_alu instid0(VALU_DEP_1)
	v_cmp_le_u64_e32 vcc_lo, s[4:5], v[8:9]
	v_mov_b64_e32 v[4:5], v[8:9]
	s_and_saveexec_b32 s5, vcc_lo
	s_cbranch_execz .LBB0_13
; %bb.12:
	v_cvt_f32_u32_e32 v1, s4
	s_sub_co_i32 s6, 0, s4
	s_delay_alu instid0(VALU_DEP_1) | instskip(SKIP_1) | instid1(TRANS32_DEP_1)
	v_rcp_iflag_f32_e32 v1, v1
	v_nop
	v_mul_f32_e32 v1, 0x4f7ffffe, v1
	s_delay_alu instid0(VALU_DEP_1) | instskip(NEXT) | instid1(VALU_DEP_1)
	v_cvt_u32_f32_e32 v1, v1
	v_mul_lo_u32 v3, s6, v1
	s_delay_alu instid0(VALU_DEP_1) | instskip(NEXT) | instid1(VALU_DEP_1)
	v_mul_hi_u32 v3, v1, v3
	v_add_nc_u32_e32 v1, v1, v3
	s_delay_alu instid0(VALU_DEP_1) | instskip(NEXT) | instid1(VALU_DEP_1)
	v_mul_hi_u32 v1, v8, v1
	v_mul_lo_u32 v1, v1, s4
	s_delay_alu instid0(VALU_DEP_1) | instskip(NEXT) | instid1(VALU_DEP_1)
	v_sub_nc_u32_e32 v1, v8, v1
	v_subrev_nc_u32_e32 v3, s4, v1
	v_cmp_le_u32_e32 vcc_lo, s4, v1
	s_delay_alu instid0(VALU_DEP_2) | instskip(NEXT) | instid1(VALU_DEP_1)
	v_cndmask_b32_e32 v1, v1, v3, vcc_lo
	v_subrev_nc_u32_e32 v3, s4, v1
	v_cmp_le_u32_e32 vcc_lo, s4, v1
	s_delay_alu instid0(VALU_DEP_2)
	v_cndmask_b32_e32 v4, v1, v3, vcc_lo
.LBB0_13:
	s_or_b32 exec_lo, exec_lo, s5
	s_wait_kmcnt 0x0
	s_cvt_f32_i32 s3, s3
	v_mul_lo_u32 v3, v8, s2
	v_mad_u32 v1, s16, v2, v6
                                        ; implicit-def: $vgpr5
	s_delay_alu instid0(SALU_CYCLE_1) | instskip(SKIP_1) | instid1(SALU_CYCLE_2)
	s_mul_f32 s4, s3, 0x4f800000
	s_cmp_lt_f32 s3, 0xf800000
	s_cselect_b32 s4, s4, s3
	s_delay_alu instid0(SALU_CYCLE_1) | instskip(SKIP_1) | instid1(TRANS32_DEP_1)
	v_s_sqrt_f32 s5, s4
	s_mov_b32 s7, s4
	s_add_co_i32 s6, s5, -1
	s_delay_alu instid0(SALU_CYCLE_1) | instskip(NEXT) | instid1(SALU_CYCLE_1)
	s_xor_b32 s8, s6, 0x80000000
	s_fmac_f32 s7, s8, s5
	s_mov_b32 s8, s4
	s_delay_alu instid0(SALU_CYCLE_2) | instskip(SKIP_2) | instid1(SALU_CYCLE_1)
	s_cmp_le_f32 s7, 0
	s_cselect_b32 s6, s6, s5
	s_add_co_i32 s7, s5, 1
	s_xor_b32 s9, s7, 0x80000000
	s_delay_alu instid0(SALU_CYCLE_1) | instskip(NEXT) | instid1(SALU_CYCLE_3)
	s_fmac_f32 s8, s9, s5
	s_cmp_gt_f32 s8, 0
	s_cselect_b32 s5, s7, s6
	s_cmp_lt_f32 s3, 0xf800000
	s_mul_f32 s3, s5, 0x37800000
	v_cmp_class_f32_e64 s6, s4, 0x260
	s_delay_alu instid0(SALU_CYCLE_2) | instskip(SKIP_2) | instid1(SALU_CYCLE_1)
	s_cselect_b32 s2, s3, s5
	s_and_b32 s3, s6, exec_lo
	s_cselect_b32 s2, s4, s2
	s_cvt_i32_f32 s3, s2
	s_mov_b32 s2, -1
	s_delay_alu instid0(SALU_CYCLE_2)
	s_cmp_gt_i32 s3, 0
	s_cbranch_scc1 .LBB0_15
; %bb.14:
	v_mad_u32 v5, s16, v2, v6
	s_mov_b32 s2, 0
.LBB0_15:
	s_load_b64 s[20:21], s[0:1], 0x20
	v_dual_mov_b32 v3, 0 :: v_dual_sub_nc_u32 v0, v0, v3
	s_and_not1_b32 vcc_lo, exec_lo, s2
	s_cbranch_vccnz .LBB0_21
; %bb.16:
	s_delay_alu instid0(VALU_DEP_1) | instskip(SKIP_4) | instid1(VALU_DEP_1)
	v_cvt_f32_i32_e32 v3, v0
	v_cvt_f32_i32_e32 v5, v4
	s_cvt_f32_i32 s16, s18
	s_cvt_f32_i32 s19, s17
	s_load_b128 s[12:15], s[0:1], 0x3c
	v_dual_add_f32 v3, 0.5, v3 :: v_dual_add_f32 v6, 0.5, v5
	s_load_b256 s[4:11], s[0:1], 0x0
	v_mul_lo_u32 v2, v2, s3
	s_delay_alu instid0(VALU_DEP_2) | instskip(NEXT) | instid1(VALU_DEP_3)
	v_div_scale_f32 v5, null, s16, s16, v3
	v_div_scale_f32 v7, null, s19, s19, v6
	v_div_scale_f32 v12, vcc_lo, v3, s16, v3
	s_delay_alu instid0(VALU_DEP_3) | instskip(NEXT) | instid1(VALU_DEP_2)
	v_rcp_f32_e32 v8, v5
	v_rcp_f32_e32 v9, v7
	s_delay_alu instid0(TRANS32_DEP_2) | instskip(NEXT) | instid1(TRANS32_DEP_1)
	v_fma_f32 v10, -v5, v8, 1.0
	v_fma_f32 v11, -v7, v9, 1.0
	s_wait_kmcnt 0x0
	s_lshl_b32 s0, s15, 1
	s_mul_i32 s1, s13, s12
	s_sub_co_i32 s15, s13, s0
	v_dual_fmac_f32 v8, v10, v8 :: v_dual_fmac_f32 v9, v11, v9
	v_div_scale_f32 v10, s2, v6, s19, v6
	s_sub_co_i32 s0, s12, s0
	v_dual_mul_f32 v11, v12, v8 :: v_dual_mul_f32 v13, v10, v9
	s_delay_alu instid0(VALU_DEP_1) | instskip(NEXT) | instid1(VALU_DEP_1)
	v_dual_fma_f32 v14, -v5, v11, v12 :: v_dual_fma_f32 v15, -v7, v13, v10
	v_dual_fmac_f32 v11, v14, v8 :: v_dual_fmac_f32 v13, v15, v9
	s_delay_alu instid0(VALU_DEP_1) | instskip(NEXT) | instid1(VALU_DEP_1)
	v_dual_fma_f32 v5, -v5, v11, v12 :: v_dual_fma_f32 v7, -v7, v13, v10
	v_div_fmas_f32 v8, v5, v8, v11
	s_mov_b32 vcc_lo, s2
	v_mul_lo_u32 v5, s1, v1
	s_delay_alu instid0(VALU_DEP_3)
	v_div_fmas_f32 v7, v7, v9, v13
	s_cvt_f32_i32 s1, s0
	v_div_fixup_f32 v3, v8, s16, v3
	s_cvt_f32_i32 s2, s15
	s_cvt_f32_i32 s0, s14
	v_div_fixup_f32 v7, v7, s19, v6
	s_delay_alu instid0(VALU_DEP_2) | instskip(SKIP_1) | instid1(VALU_DEP_2)
	v_dual_mul_f32 v6, s1, v3 :: v_dual_mov_b32 v3, 0
	s_add_co_i32 s1, s12, -1
	v_mul_f32_e32 v7, s2, v7
	s_add_co_i32 s2, s13, -1
	s_mov_b32 s13, 0
.LBB0_17:                               ; =>This Loop Header: Depth=1
                                        ;     Child Loop BB0_18 Depth 2
	s_delay_alu instid0(SALU_CYCLE_1)
	s_cvt_f32_u32 s14, s13
	s_delay_alu instid0(VALU_DEP_1) | instid1(SALU_CYCLE_3)
	v_dual_add_f32 v9, s14, v7 :: v_dual_add_nc_u32 v8, s13, v2
	s_mov_b32 s14, 0
	s_delay_alu instid0(VALU_DEP_1)
	v_mul_lo_u32 v8, v8, s3
.LBB0_18:                               ;   Parent Loop BB0_17 Depth=1
                                        ; =>  This Inner Loop Header: Depth=2
	s_cvt_f32_u32 s15, s14
	s_delay_alu instid0(VALU_DEP_1) | instskip(SKIP_1) | instid1(SALU_CYCLE_1)
	v_add_nc_u32_e32 v10, s14, v8
	s_add_co_i32 s14, s14, 1
	s_cmp_eq_u32 s3, s14
	s_delay_alu instid0(VALU_DEP_1) | instskip(NEXT) | instid1(VALU_DEP_1)
	v_mad_u32 v10, v10, s17, v4
	v_mad_u32 v10, v10, s18, v0
	s_clause 0x2
	global_load_b32 v11, v10, s[10:11] scale_offset
	global_load_b32 v12, v10, s[8:9] scale_offset
	;; [unrolled: 1-line block ×3, first 2 shown]
	s_wait_loadcnt 0x2
	s_wait_xcnt 0x0
	v_dual_fma_f32 v10, s0, v11, v9 :: v_dual_add_f32 v11, s15, v6
	s_wait_loadcnt 0x1
	s_delay_alu instid0(VALU_DEP_1) | instskip(NEXT) | instid1(VALU_DEP_1)
	v_dual_fmac_f32 v11, s0, v12 :: v_dual_add_f32 v14, -0.5, v10
	v_add_f32_e32 v15, -0.5, v11
	s_delay_alu instid0(VALU_DEP_2) | instskip(NEXT) | instid1(VALU_DEP_2)
	v_floor_f32_e32 v16, v14
	v_floor_f32_e32 v17, v15
	s_delay_alu instid0(VALU_DEP_2) | instskip(NEXT) | instid1(VALU_DEP_2)
	v_cvt_i32_f32_e32 v10, v16
	v_cvt_i32_f32_e32 v11, v17
	s_delay_alu instid0(VALU_DEP_2) | instskip(SKIP_1) | instid1(VALU_DEP_3)
	v_minmax_i32 v10, v10, s2, 0
	v_dual_sub_f32 v15, v15, v17 :: v_dual_sub_f32 v16, v14, v16
	v_minmax_i32 v13, v11, s1, 0
	s_delay_alu instid0(VALU_DEP_3) | instskip(SKIP_1) | instid1(VALU_DEP_1)
	v_add_nc_u32_e32 v12, 1, v10
	v_mad_u32 v10, v10, s12, v5
	v_dual_sub_f32 v14, 1.0, v15 :: v_dual_add_nc_u32 v20, v10, v13
	s_delay_alu instid0(VALU_DEP_3) | instskip(NEXT) | instid1(VALU_DEP_1)
	v_minmax_i32 v11, v12, s2, 0
	v_mad_u32 v18, v11, s12, v5
	v_add_nc_u32_e32 v12, 1, v13
	s_delay_alu instid0(VALU_DEP_1) | instskip(NEXT) | instid1(VALU_DEP_1)
	v_minmax_i32 v12, v12, s1, 0
	v_add_nc_u32_e32 v21, v10, v12
	s_clause 0x1
	global_load_b32 v10, v20, s[4:5] scale_offset
	global_load_b32 v11, v21, s[4:5] scale_offset
	s_wait_xcnt 0x1
	v_dual_add_nc_u32 v20, v18, v13 :: v_dual_add_nc_u32 v18, v18, v12
	s_clause 0x1
	global_load_b32 v13, v20, s[4:5] scale_offset
	global_load_b32 v12, v18, s[4:5] scale_offset
	s_wait_xcnt 0x0
	v_dual_mov_b32 v20, v15 :: v_dual_sub_f32 v18, 1.0, v16
	v_mov_b32_e32 v21, v14
	s_wait_loadcnt 0x4
	s_delay_alu instid0(VALU_DEP_2) | instskip(NEXT) | instid1(VALU_DEP_2)
	v_pk_mul_f32 v[14:15], v[14:15], v[18:19] op_sel_hi:[1,0]
	v_pk_mul_f32 v[16:17], v[20:21], v[16:17] op_sel_hi:[1,0]
	s_wait_loadcnt 0x2
	s_delay_alu instid0(VALU_DEP_2) | instskip(NEXT) | instid1(VALU_DEP_1)
	v_pk_mul_f32 v[10:11], v[10:11], v[14:15]
	v_add_f32_e32 v14, v10, v11
	s_wait_loadcnt 0x0
	v_pk_mul_f32 v[10:11], v[12:13], v[16:17]
	s_delay_alu instid0(VALU_DEP_1) | instskip(NEXT) | instid1(VALU_DEP_1)
	v_add_f32_e32 v11, v11, v14
	v_add_f32_e32 v10, v10, v11
	s_delay_alu instid0(VALU_DEP_1)
	v_fmac_f32_e32 v3, v19, v10
	s_cbranch_scc0 .LBB0_18
; %bb.19:                               ;   in Loop: Header=BB0_17 Depth=1
	s_add_co_i32 s13, s13, 1
	s_delay_alu instid0(SALU_CYCLE_1)
	s_cmp_eq_u32 s13, s3
	s_cbranch_scc0 .LBB0_17
; %bb.20:
	v_mov_b32_e32 v5, v1
.LBB0_21:
	s_delay_alu instid0(VALU_DEP_1) | instskip(NEXT) | instid1(VALU_DEP_1)
	v_mad_u32 v1, v5, s17, v4
	v_mad_u32 v0, v1, s18, v0
	s_wait_kmcnt 0x0
	global_store_b32 v0, v3, s[20:21] scale_offset
.LBB0_22:
	s_endpgm
	.section	.rodata,"a",@progbits
	.p2align	6, 0x0
	.amdhsa_kernel _Z3carPKfS0_S0_S0_Pf6paramsiim
		.amdhsa_group_segment_fixed_size 0
		.amdhsa_private_segment_fixed_size 0
		.amdhsa_kernarg_size 344
		.amdhsa_user_sgpr_count 2
		.amdhsa_user_sgpr_dispatch_ptr 0
		.amdhsa_user_sgpr_queue_ptr 0
		.amdhsa_user_sgpr_kernarg_segment_ptr 1
		.amdhsa_user_sgpr_dispatch_id 0
		.amdhsa_user_sgpr_kernarg_preload_length 0
		.amdhsa_user_sgpr_kernarg_preload_offset 0
		.amdhsa_user_sgpr_private_segment_size 0
		.amdhsa_wavefront_size32 1
		.amdhsa_uses_dynamic_stack 0
		.amdhsa_enable_private_segment 0
		.amdhsa_system_sgpr_workgroup_id_x 1
		.amdhsa_system_sgpr_workgroup_id_y 0
		.amdhsa_system_sgpr_workgroup_id_z 0
		.amdhsa_system_sgpr_workgroup_info 0
		.amdhsa_system_vgpr_workitem_id 0
		.amdhsa_next_free_vgpr 22
		.amdhsa_next_free_sgpr 22
		.amdhsa_named_barrier_count 0
		.amdhsa_reserve_vcc 1
		.amdhsa_float_round_mode_32 0
		.amdhsa_float_round_mode_16_64 0
		.amdhsa_float_denorm_mode_32 3
		.amdhsa_float_denorm_mode_16_64 3
		.amdhsa_fp16_overflow 0
		.amdhsa_memory_ordered 1
		.amdhsa_forward_progress 1
		.amdhsa_inst_pref_size 17
		.amdhsa_round_robin_scheduling 0
		.amdhsa_exception_fp_ieee_invalid_op 0
		.amdhsa_exception_fp_denorm_src 0
		.amdhsa_exception_fp_ieee_div_zero 0
		.amdhsa_exception_fp_ieee_overflow 0
		.amdhsa_exception_fp_ieee_underflow 0
		.amdhsa_exception_fp_ieee_inexact 0
		.amdhsa_exception_int_div_zero 0
	.end_amdhsa_kernel
	.text
.Lfunc_end0:
	.size	_Z3carPKfS0_S0_S0_Pf6paramsiim, .Lfunc_end0-_Z3carPKfS0_S0_S0_Pf6paramsiim
                                        ; -- End function
	.set _Z3carPKfS0_S0_S0_Pf6paramsiim.num_vgpr, 22
	.set _Z3carPKfS0_S0_S0_Pf6paramsiim.num_agpr, 0
	.set _Z3carPKfS0_S0_S0_Pf6paramsiim.numbered_sgpr, 22
	.set _Z3carPKfS0_S0_S0_Pf6paramsiim.num_named_barrier, 0
	.set _Z3carPKfS0_S0_S0_Pf6paramsiim.private_seg_size, 0
	.set _Z3carPKfS0_S0_S0_Pf6paramsiim.uses_vcc, 1
	.set _Z3carPKfS0_S0_S0_Pf6paramsiim.uses_flat_scratch, 0
	.set _Z3carPKfS0_S0_S0_Pf6paramsiim.has_dyn_sized_stack, 0
	.set _Z3carPKfS0_S0_S0_Pf6paramsiim.has_recursion, 0
	.set _Z3carPKfS0_S0_S0_Pf6paramsiim.has_indirect_call, 0
	.section	.AMDGPU.csdata,"",@progbits
; Kernel info:
; codeLenInByte = 2096
; TotalNumSgprs: 24
; NumVgprs: 22
; ScratchSize: 0
; MemoryBound: 0
; FloatMode: 240
; IeeeMode: 1
; LDSByteSize: 0 bytes/workgroup (compile time only)
; SGPRBlocks: 0
; VGPRBlocks: 1
; NumSGPRsForWavesPerEU: 24
; NumVGPRsForWavesPerEU: 22
; NamedBarCnt: 0
; Occupancy: 16
; WaveLimiterHint : 0
; COMPUTE_PGM_RSRC2:SCRATCH_EN: 0
; COMPUTE_PGM_RSRC2:USER_SGPR: 2
; COMPUTE_PGM_RSRC2:TRAP_HANDLER: 0
; COMPUTE_PGM_RSRC2:TGID_X_EN: 1
; COMPUTE_PGM_RSRC2:TGID_Y_EN: 0
; COMPUTE_PGM_RSRC2:TGID_Z_EN: 0
; COMPUTE_PGM_RSRC2:TIDIG_COMP_CNT: 0
	.text
	.p2alignl 7, 3214868480
	.fill 96, 4, 3214868480
	.section	.AMDGPU.gpr_maximums,"",@progbits
	.set amdgpu.max_num_vgpr, 0
	.set amdgpu.max_num_agpr, 0
	.set amdgpu.max_num_sgpr, 0
	.text
	.type	__hip_cuid_972c2897a23fb229,@object ; @__hip_cuid_972c2897a23fb229
	.section	.bss,"aw",@nobits
	.globl	__hip_cuid_972c2897a23fb229
__hip_cuid_972c2897a23fb229:
	.byte	0                               ; 0x0
	.size	__hip_cuid_972c2897a23fb229, 1

	.ident	"AMD clang version 22.0.0git (https://github.com/RadeonOpenCompute/llvm-project roc-7.2.4 26084 f58b06dce1f9c15707c5f808fd002e18c2accf7e)"
	.section	".note.GNU-stack","",@progbits
	.addrsig
	.addrsig_sym __hip_cuid_972c2897a23fb229
	.amdgpu_metadata
---
amdhsa.kernels:
  - .args:
      - .actual_access:  read_only
        .address_space:  global
        .offset:         0
        .size:           8
        .value_kind:     global_buffer
      - .actual_access:  read_only
        .address_space:  global
        .offset:         8
        .size:           8
        .value_kind:     global_buffer
      - .actual_access:  read_only
        .address_space:  global
        .offset:         16
        .size:           8
        .value_kind:     global_buffer
      - .actual_access:  read_only
        .address_space:  global
        .offset:         24
        .size:           8
        .value_kind:     global_buffer
      - .actual_access:  write_only
        .address_space:  global
        .offset:         32
        .size:           8
        .value_kind:     global_buffer
      - .offset:         40
        .size:           28
        .value_kind:     by_value
      - .offset:         68
        .size:           4
        .value_kind:     by_value
      - .offset:         72
        .size:           4
        .value_kind:     by_value
      - .offset:         80
        .size:           8
        .value_kind:     by_value
      - .offset:         88
        .size:           4
        .value_kind:     hidden_block_count_x
      - .offset:         92
        .size:           4
        .value_kind:     hidden_block_count_y
      - .offset:         96
        .size:           4
        .value_kind:     hidden_block_count_z
      - .offset:         100
        .size:           2
        .value_kind:     hidden_group_size_x
      - .offset:         102
        .size:           2
        .value_kind:     hidden_group_size_y
      - .offset:         104
        .size:           2
        .value_kind:     hidden_group_size_z
      - .offset:         106
        .size:           2
        .value_kind:     hidden_remainder_x
      - .offset:         108
        .size:           2
        .value_kind:     hidden_remainder_y
      - .offset:         110
        .size:           2
        .value_kind:     hidden_remainder_z
      - .offset:         128
        .size:           8
        .value_kind:     hidden_global_offset_x
      - .offset:         136
        .size:           8
        .value_kind:     hidden_global_offset_y
      - .offset:         144
        .size:           8
        .value_kind:     hidden_global_offset_z
      - .offset:         152
        .size:           2
        .value_kind:     hidden_grid_dims
    .group_segment_fixed_size: 0
    .kernarg_segment_align: 8
    .kernarg_segment_size: 344
    .language:       OpenCL C
    .language_version:
      - 2
      - 0
    .max_flat_workgroup_size: 1024
    .name:           _Z3carPKfS0_S0_S0_Pf6paramsiim
    .private_segment_fixed_size: 0
    .sgpr_count:     24
    .sgpr_spill_count: 0
    .symbol:         _Z3carPKfS0_S0_S0_Pf6paramsiim.kd
    .uniform_work_group_size: 1
    .uses_dynamic_stack: false
    .vgpr_count:     22
    .vgpr_spill_count: 0
    .wavefront_size: 32
amdhsa.target:   amdgcn-amd-amdhsa--gfx1250
amdhsa.version:
  - 1
  - 2
...

	.end_amdgpu_metadata
